;; amdgpu-corpus repo=zjin-lcf/HeCBench kind=compiled arch=gfx1030 opt=O3
	.amdgcn_target "amdgcn-amd-amdhsa--gfx1030"
	.amdhsa_code_object_version 6
	.text
	.protected	_Z10fpc_kernelPKmPj     ; -- Begin function _Z10fpc_kernelPKmPj
	.globl	_Z10fpc_kernelPKmPj
	.p2align	8
	.type	_Z10fpc_kernelPKmPj,@function
_Z10fpc_kernelPKmPj:                    ; @_Z10fpc_kernelPKmPj
; %bb.0:
	s_clause 0x1
	s_load_dword s7, s[4:5], 0x1c
	s_load_dwordx4 s[0:3], s[4:5], 0x0
	v_mov_b32_e32 v4, 1
	s_waitcnt lgkmcnt(0)
	s_and_b32 s4, s7, 0xffff
	v_mad_u64_u32 v[1:2], null, s6, s4, v[0:1]
	v_ashrrev_i32_e32 v2, 31, v1
	v_lshlrev_b64 v[1:2], 3, v[1:2]
	v_add_co_u32 v1, vcc_lo, s0, v1
	v_add_co_ci_u32_e64 v2, null, s1, v2, vcc_lo
	s_mov_b32 s1, exec_lo
	global_load_dwordx2 v[1:2], v[1:2], off
	s_waitcnt vmcnt(0)
	v_cmpx_ne_u64_e32 0, v[1:2]
	s_cbranch_execz .LBB0_16
; %bb.1:
	v_sub_nc_u32_e32 v2, 0, v1
	v_mov_b32_e32 v4, 1
	s_mov_b32 s5, exec_lo
	v_max_i32_e32 v2, v1, v2
	v_cmpx_lt_u32_e32 0xff, v2
	s_cbranch_execz .LBB0_15
; %bb.2:
	v_mov_b32_e32 v4, 2
	s_mov_b32 s6, exec_lo
	v_cmpx_lt_u32_e32 0xffff, v2
	s_cbranch_execz .LBB0_14
; %bb.3:
	v_and_b32_e32 v2, 0xffff, v1
	v_mov_b32_e32 v3, 0
	v_mov_b32_e32 v4, 2
	s_mov_b32 s7, exec_lo
	v_cmpx_ne_u64_e32 0, v[2:3]
	s_cbranch_execz .LBB0_13
; %bb.4:
	v_cmp_lt_u64_e32 vcc_lo, 0xff, v[2:3]
	v_cmp_lt_u32_e64 s0, 0xffffff, v1
	v_mov_b32_e32 v4, 2
	s_or_b32 s8, vcc_lo, s0
	s_and_saveexec_b32 s0, s8
	s_cbranch_execz .LBB0_12
; %bb.5:
	v_mov_b32_e32 v3, 0
	v_and_b32_e32 v2, 0xff, v1
	v_bfe_u32 v4, v1, 8, 8
	s_mov_b32 s9, exec_lo
	v_mov_b32_e32 v5, v3
	v_cmp_ne_u64_e64 s8, v[2:3], v[4:5]
	v_cmpx_eq_u64_e64 v[2:3], v[4:5]
	s_cbranch_execz .LBB0_9
; %bb.6:
	v_bfe_u32 v4, v1, 16, 8
	v_mov_b32_e32 v5, v3
	s_mov_b32 s11, exec_lo
	v_cmp_ne_u64_e64 s10, v[2:3], v[4:5]
	v_cmpx_eq_u64_e64 v[2:3], v[4:5]
; %bb.7:
	v_lshrrev_b32_e32 v4, 24, v1
	v_mov_b32_e32 v5, 0
	s_andn2_b32 s10, s10, exec_lo
	v_cmp_ne_u64_e32 vcc_lo, v[2:3], v[4:5]
	s_and_b32 s12, vcc_lo, exec_lo
	s_or_b32 s10, s10, s12
; %bb.8:
	s_or_b32 exec_lo, exec_lo, s11
	s_andn2_b32 s8, s8, exec_lo
	s_and_b32 s10, s10, exec_lo
	s_or_b32 s8, s8, s10
.LBB0_9:
	s_or_b32 exec_lo, exec_lo, s9
	v_mov_b32_e32 v4, 1
	s_and_saveexec_b32 s9, s8
; %bb.10:
	v_mov_b32_e32 v4, 4
; %bb.11:
	s_or_b32 exec_lo, exec_lo, s9
.LBB0_12:
	s_or_b32 exec_lo, exec_lo, s0
.LBB0_13:
	s_or_b32 exec_lo, exec_lo, s7
.LBB0_14:
	s_or_b32 exec_lo, exec_lo, s6
.LBB0_15:
	s_or_b32 exec_lo, exec_lo, s5
.LBB0_16:
	s_or_b32 exec_lo, exec_lo, s1
	s_mov_b32 s0, 0
	s_mov_b32 s1, exec_lo
	v_cmpx_eq_u32_e32 0, v0
; %bb.17:
	v_mov_b32_e32 v1, 0
	ds_write_b32 v1, v1
; %bb.18:
	s_or_b32 exec_lo, exec_lo, s1
	s_mov_b32 s1, exec_lo
	s_waitcnt lgkmcnt(0)
	s_barrier
	buffer_gl0_inv
.LBB0_19:                               ; =>This Inner Loop Header: Depth=1
	s_ff1_i32_b32 s5, s1
	v_readlane_b32 s6, v4, s5
	s_lshl_b32 s5, 1, s5
	s_andn2_b32 s1, s1, s5
	s_add_i32 s0, s0, s6
	s_cmp_lg_u32 s1, 0
	s_cbranch_scc1 .LBB0_19
; %bb.20:
	v_mbcnt_lo_u32_b32 v1, exec_lo, 0
	s_mov_b32 s1, exec_lo
	v_cmpx_eq_u32_e32 0, v1
	s_xor_b32 s1, exec_lo, s1
; %bb.21:
	v_mov_b32_e32 v1, 0
	v_mov_b32_e32 v2, s0
	ds_add_u32 v1, v2
; %bb.22:
	s_or_b32 exec_lo, exec_lo, s1
	s_add_i32 s4, s4, -1
	s_waitcnt lgkmcnt(0)
	s_barrier
	buffer_gl0_inv
	s_mov_b32 s0, exec_lo
	v_cmpx_eq_u32_e64 s4, v0
	s_cbranch_execz .LBB0_25
; %bb.23:
	s_mov_b32 s0, exec_lo
	v_mbcnt_lo_u32_b32 v0, s0, 0
	v_cmp_eq_u32_e32 vcc_lo, 0, v0
	s_and_b32 s1, exec_lo, vcc_lo
	s_mov_b32 exec_lo, s1
	s_cbranch_execz .LBB0_25
; %bb.24:
	v_mov_b32_e32 v0, 0
	s_bcnt1_i32_b32 s0, s0
	ds_read_b32 v1, v0
	s_waitcnt lgkmcnt(0)
	v_mul_lo_u32 v1, v1, s0
	global_atomic_add v0, v1, s[2:3]
.LBB0_25:
	s_endpgm
	.section	.rodata,"a",@progbits
	.p2align	6, 0x0
	.amdhsa_kernel _Z10fpc_kernelPKmPj
		.amdhsa_group_segment_fixed_size 4
		.amdhsa_private_segment_fixed_size 0
		.amdhsa_kernarg_size 272
		.amdhsa_user_sgpr_count 6
		.amdhsa_user_sgpr_private_segment_buffer 1
		.amdhsa_user_sgpr_dispatch_ptr 0
		.amdhsa_user_sgpr_queue_ptr 0
		.amdhsa_user_sgpr_kernarg_segment_ptr 1
		.amdhsa_user_sgpr_dispatch_id 0
		.amdhsa_user_sgpr_flat_scratch_init 0
		.amdhsa_user_sgpr_private_segment_size 0
		.amdhsa_wavefront_size32 1
		.amdhsa_uses_dynamic_stack 0
		.amdhsa_system_sgpr_private_segment_wavefront_offset 0
		.amdhsa_system_sgpr_workgroup_id_x 1
		.amdhsa_system_sgpr_workgroup_id_y 0
		.amdhsa_system_sgpr_workgroup_id_z 0
		.amdhsa_system_sgpr_workgroup_info 0
		.amdhsa_system_vgpr_workitem_id 0
		.amdhsa_next_free_vgpr 6
		.amdhsa_next_free_sgpr 13
		.amdhsa_reserve_vcc 1
		.amdhsa_reserve_flat_scratch 0
		.amdhsa_float_round_mode_32 0
		.amdhsa_float_round_mode_16_64 0
		.amdhsa_float_denorm_mode_32 3
		.amdhsa_float_denorm_mode_16_64 3
		.amdhsa_dx10_clamp 1
		.amdhsa_ieee_mode 1
		.amdhsa_fp16_overflow 0
		.amdhsa_workgroup_processor_mode 1
		.amdhsa_memory_ordered 1
		.amdhsa_forward_progress 1
		.amdhsa_shared_vgpr_count 0
		.amdhsa_exception_fp_ieee_invalid_op 0
		.amdhsa_exception_fp_denorm_src 0
		.amdhsa_exception_fp_ieee_div_zero 0
		.amdhsa_exception_fp_ieee_overflow 0
		.amdhsa_exception_fp_ieee_underflow 0
		.amdhsa_exception_fp_ieee_inexact 0
		.amdhsa_exception_int_div_zero 0
	.end_amdhsa_kernel
	.text
.Lfunc_end0:
	.size	_Z10fpc_kernelPKmPj, .Lfunc_end0-_Z10fpc_kernelPKmPj
                                        ; -- End function
	.set _Z10fpc_kernelPKmPj.num_vgpr, 6
	.set _Z10fpc_kernelPKmPj.num_agpr, 0
	.set _Z10fpc_kernelPKmPj.numbered_sgpr, 13
	.set _Z10fpc_kernelPKmPj.num_named_barrier, 0
	.set _Z10fpc_kernelPKmPj.private_seg_size, 0
	.set _Z10fpc_kernelPKmPj.uses_vcc, 1
	.set _Z10fpc_kernelPKmPj.uses_flat_scratch, 0
	.set _Z10fpc_kernelPKmPj.has_dyn_sized_stack, 0
	.set _Z10fpc_kernelPKmPj.has_recursion, 0
	.set _Z10fpc_kernelPKmPj.has_indirect_call, 0
	.section	.AMDGPU.csdata,"",@progbits
; Kernel info:
; codeLenInByte = 592
; TotalNumSgprs: 15
; NumVgprs: 6
; ScratchSize: 0
; MemoryBound: 0
; FloatMode: 240
; IeeeMode: 1
; LDSByteSize: 4 bytes/workgroup (compile time only)
; SGPRBlocks: 0
; VGPRBlocks: 0
; NumSGPRsForWavesPerEU: 15
; NumVGPRsForWavesPerEU: 6
; Occupancy: 16
; WaveLimiterHint : 0
; COMPUTE_PGM_RSRC2:SCRATCH_EN: 0
; COMPUTE_PGM_RSRC2:USER_SGPR: 6
; COMPUTE_PGM_RSRC2:TRAP_HANDLER: 0
; COMPUTE_PGM_RSRC2:TGID_X_EN: 1
; COMPUTE_PGM_RSRC2:TGID_Y_EN: 0
; COMPUTE_PGM_RSRC2:TGID_Z_EN: 0
; COMPUTE_PGM_RSRC2:TIDIG_COMP_CNT: 0
	.text
	.protected	_Z11fpc2_kernelPKmPj    ; -- Begin function _Z11fpc2_kernelPKmPj
	.globl	_Z11fpc2_kernelPKmPj
	.p2align	8
	.type	_Z11fpc2_kernelPKmPj,@function
_Z11fpc2_kernelPKmPj:                   ; @_Z11fpc2_kernelPKmPj
; %bb.0:
	s_clause 0x1
	s_load_dword s0, s[4:5], 0x1c
	s_load_dwordx4 s[8:11], s[4:5], 0x0
	s_waitcnt lgkmcnt(0)
	s_and_b32 s3, s0, 0xffff
	v_mad_u64_u32 v[1:2], null, s6, s3, v[0:1]
	v_ashrrev_i32_e32 v2, 31, v1
	v_lshlrev_b64 v[1:2], 3, v[1:2]
	v_add_co_u32 v1, vcc_lo, s8, v1
	v_add_co_ci_u32_e64 v2, null, s9, v2, vcc_lo
	global_load_dwordx2 v[1:2], v[1:2], off
	s_waitcnt vmcnt(0)
	v_mov_b32_e32 v2, 4
	v_cmp_eq_u32_sdwa s1, v1, v1 src0_sel:BYTE_0 src1_sel:BYTE_1
	s_and_saveexec_b32 s0, s1
; %bb.1:
	v_cmp_eq_u32_sdwa s1, v1, v1 src0_sel:BYTE_0 src1_sel:BYTE_2
	v_cmp_eq_u32_sdwa s2, v1, v1 src0_sel:BYTE_0 src1_sel:BYTE_3
	s_and_b32 s1, s2, s1
	v_cndmask_b32_e64 v2, 4, 1, s1
; %bb.2:
	s_or_b32 exec_lo, exec_lo, s0
	s_mov_b32 s4, 0
	s_mov_b32 s0, exec_lo
	v_cmpx_eq_u32_e32 0, v0
; %bb.3:
	v_mov_b32_e32 v3, 0
	ds_write_b32 v3, v3
; %bb.4:
	s_or_b32 exec_lo, exec_lo, s0
	v_sub_nc_u32_e32 v5, 0, v1
	v_and_b32_e32 v3, 0xffff, v1
	v_mov_b32_e32 v4, 0
	v_and_b32_e32 v6, 0xff00, v1
	v_cmp_gt_u32_e32 vcc_lo, 0x1000000, v1
	v_max_i32_e32 v5, v1, v5
	s_mov_b32 s5, exec_lo
	v_cmp_eq_u64_e64 s0, 0, v[3:4]
	v_cmp_eq_u32_e64 s1, 0, v6
	s_waitcnt lgkmcnt(0)
	v_cmp_gt_u32_e64 s2, 0x10000, v5
	s_barrier
	buffer_gl0_inv
	s_and_b32 s1, vcc_lo, s1
	v_cmp_lt_u32_e32 vcc_lo, 0xff, v5
	s_or_b32 s0, s0, s2
	s_or_b32 s0, s0, s1
	v_cndmask_b32_e64 v1, v2, 2, s0
	v_cndmask_b32_e32 v1, 1, v1, vcc_lo
.LBB1_5:                                ; =>This Inner Loop Header: Depth=1
	s_ff1_i32_b32 s0, s5
	v_readlane_b32 s1, v1, s0
	s_lshl_b32 s0, 1, s0
	s_andn2_b32 s5, s5, s0
	s_add_i32 s4, s4, s1
	s_cmp_lg_u32 s5, 0
	s_cbranch_scc1 .LBB1_5
; %bb.6:
	v_mbcnt_lo_u32_b32 v1, exec_lo, 0
	s_mov_b32 s0, exec_lo
	v_cmpx_eq_u32_e32 0, v1
	s_xor_b32 s0, exec_lo, s0
; %bb.7:
	v_mov_b32_e32 v1, 0
	v_mov_b32_e32 v2, s4
	ds_add_u32 v1, v2
; %bb.8:
	s_or_b32 exec_lo, exec_lo, s0
	s_add_i32 s3, s3, -1
	s_waitcnt lgkmcnt(0)
	s_barrier
	buffer_gl0_inv
	s_mov_b32 s0, exec_lo
	v_cmpx_eq_u32_e64 s3, v0
	s_cbranch_execz .LBB1_11
; %bb.9:
	s_mov_b32 s0, exec_lo
	v_mbcnt_lo_u32_b32 v0, s0, 0
	v_cmp_eq_u32_e32 vcc_lo, 0, v0
	s_and_b32 s1, exec_lo, vcc_lo
	s_mov_b32 exec_lo, s1
	s_cbranch_execz .LBB1_11
; %bb.10:
	v_mov_b32_e32 v0, 0
	s_bcnt1_i32_b32 s0, s0
	ds_read_b32 v1, v0
	s_waitcnt lgkmcnt(0)
	v_mul_lo_u32 v1, v1, s0
	global_atomic_add v0, v1, s[10:11]
.LBB1_11:
	s_endpgm
	.section	.rodata,"a",@progbits
	.p2align	6, 0x0
	.amdhsa_kernel _Z11fpc2_kernelPKmPj
		.amdhsa_group_segment_fixed_size 4
		.amdhsa_private_segment_fixed_size 0
		.amdhsa_kernarg_size 272
		.amdhsa_user_sgpr_count 6
		.amdhsa_user_sgpr_private_segment_buffer 1
		.amdhsa_user_sgpr_dispatch_ptr 0
		.amdhsa_user_sgpr_queue_ptr 0
		.amdhsa_user_sgpr_kernarg_segment_ptr 1
		.amdhsa_user_sgpr_dispatch_id 0
		.amdhsa_user_sgpr_flat_scratch_init 0
		.amdhsa_user_sgpr_private_segment_size 0
		.amdhsa_wavefront_size32 1
		.amdhsa_uses_dynamic_stack 0
		.amdhsa_system_sgpr_private_segment_wavefront_offset 0
		.amdhsa_system_sgpr_workgroup_id_x 1
		.amdhsa_system_sgpr_workgroup_id_y 0
		.amdhsa_system_sgpr_workgroup_id_z 0
		.amdhsa_system_sgpr_workgroup_info 0
		.amdhsa_system_vgpr_workitem_id 0
		.amdhsa_next_free_vgpr 7
		.amdhsa_next_free_sgpr 12
		.amdhsa_reserve_vcc 1
		.amdhsa_reserve_flat_scratch 0
		.amdhsa_float_round_mode_32 0
		.amdhsa_float_round_mode_16_64 0
		.amdhsa_float_denorm_mode_32 3
		.amdhsa_float_denorm_mode_16_64 3
		.amdhsa_dx10_clamp 1
		.amdhsa_ieee_mode 1
		.amdhsa_fp16_overflow 0
		.amdhsa_workgroup_processor_mode 1
		.amdhsa_memory_ordered 1
		.amdhsa_forward_progress 1
		.amdhsa_shared_vgpr_count 0
		.amdhsa_exception_fp_ieee_invalid_op 0
		.amdhsa_exception_fp_denorm_src 0
		.amdhsa_exception_fp_ieee_div_zero 0
		.amdhsa_exception_fp_ieee_overflow 0
		.amdhsa_exception_fp_ieee_underflow 0
		.amdhsa_exception_fp_ieee_inexact 0
		.amdhsa_exception_int_div_zero 0
	.end_amdhsa_kernel
	.text
.Lfunc_end1:
	.size	_Z11fpc2_kernelPKmPj, .Lfunc_end1-_Z11fpc2_kernelPKmPj
                                        ; -- End function
	.set _Z11fpc2_kernelPKmPj.num_vgpr, 7
	.set _Z11fpc2_kernelPKmPj.num_agpr, 0
	.set _Z11fpc2_kernelPKmPj.numbered_sgpr, 12
	.set _Z11fpc2_kernelPKmPj.num_named_barrier, 0
	.set _Z11fpc2_kernelPKmPj.private_seg_size, 0
	.set _Z11fpc2_kernelPKmPj.uses_vcc, 1
	.set _Z11fpc2_kernelPKmPj.uses_flat_scratch, 0
	.set _Z11fpc2_kernelPKmPj.has_dyn_sized_stack, 0
	.set _Z11fpc2_kernelPKmPj.has_recursion, 0
	.set _Z11fpc2_kernelPKmPj.has_indirect_call, 0
	.section	.AMDGPU.csdata,"",@progbits
; Kernel info:
; codeLenInByte = 448
; TotalNumSgprs: 14
; NumVgprs: 7
; ScratchSize: 0
; MemoryBound: 0
; FloatMode: 240
; IeeeMode: 1
; LDSByteSize: 4 bytes/workgroup (compile time only)
; SGPRBlocks: 0
; VGPRBlocks: 0
; NumSGPRsForWavesPerEU: 14
; NumVGPRsForWavesPerEU: 7
; Occupancy: 16
; WaveLimiterHint : 0
; COMPUTE_PGM_RSRC2:SCRATCH_EN: 0
; COMPUTE_PGM_RSRC2:USER_SGPR: 6
; COMPUTE_PGM_RSRC2:TRAP_HANDLER: 0
; COMPUTE_PGM_RSRC2:TGID_X_EN: 1
; COMPUTE_PGM_RSRC2:TGID_Y_EN: 0
; COMPUTE_PGM_RSRC2:TGID_Z_EN: 0
; COMPUTE_PGM_RSRC2:TIDIG_COMP_CNT: 0
	.text
	.p2alignl 6, 3214868480
	.fill 48, 4, 3214868480
	.section	.AMDGPU.gpr_maximums,"",@progbits
	.set amdgpu.max_num_vgpr, 0
	.set amdgpu.max_num_agpr, 0
	.set amdgpu.max_num_sgpr, 0
	.text
	.type	__hip_cuid_c6274e93ce83d88b,@object ; @__hip_cuid_c6274e93ce83d88b
	.section	.bss,"aw",@nobits
	.globl	__hip_cuid_c6274e93ce83d88b
__hip_cuid_c6274e93ce83d88b:
	.byte	0                               ; 0x0
	.size	__hip_cuid_c6274e93ce83d88b, 1

	.ident	"AMD clang version 22.0.0git (https://github.com/RadeonOpenCompute/llvm-project roc-7.2.4 26084 f58b06dce1f9c15707c5f808fd002e18c2accf7e)"
	.section	".note.GNU-stack","",@progbits
	.addrsig
	.addrsig_sym __hip_cuid_c6274e93ce83d88b
	.amdgpu_metadata
---
amdhsa.kernels:
  - .args:
      - .address_space:  global
        .offset:         0
        .size:           8
        .value_kind:     global_buffer
      - .address_space:  global
        .offset:         8
        .size:           8
        .value_kind:     global_buffer
      - .offset:         16
        .size:           4
        .value_kind:     hidden_block_count_x
      - .offset:         20
        .size:           4
        .value_kind:     hidden_block_count_y
      - .offset:         24
        .size:           4
        .value_kind:     hidden_block_count_z
      - .offset:         28
        .size:           2
        .value_kind:     hidden_group_size_x
      - .offset:         30
        .size:           2
        .value_kind:     hidden_group_size_y
      - .offset:         32
        .size:           2
        .value_kind:     hidden_group_size_z
      - .offset:         34
        .size:           2
        .value_kind:     hidden_remainder_x
      - .offset:         36
        .size:           2
        .value_kind:     hidden_remainder_y
      - .offset:         38
        .size:           2
        .value_kind:     hidden_remainder_z
      - .offset:         56
        .size:           8
        .value_kind:     hidden_global_offset_x
      - .offset:         64
        .size:           8
        .value_kind:     hidden_global_offset_y
      - .offset:         72
        .size:           8
        .value_kind:     hidden_global_offset_z
      - .offset:         80
        .size:           2
        .value_kind:     hidden_grid_dims
    .group_segment_fixed_size: 4
    .kernarg_segment_align: 8
    .kernarg_segment_size: 272
    .language:       OpenCL C
    .language_version:
      - 2
      - 0
    .max_flat_workgroup_size: 1024
    .name:           _Z10fpc_kernelPKmPj
    .private_segment_fixed_size: 0
    .sgpr_count:     15
    .sgpr_spill_count: 0
    .symbol:         _Z10fpc_kernelPKmPj.kd
    .uniform_work_group_size: 1
    .uses_dynamic_stack: false
    .vgpr_count:     6
    .vgpr_spill_count: 0
    .wavefront_size: 32
    .workgroup_processor_mode: 1
  - .args:
      - .address_space:  global
        .offset:         0
        .size:           8
        .value_kind:     global_buffer
      - .address_space:  global
        .offset:         8
        .size:           8
        .value_kind:     global_buffer
      - .offset:         16
        .size:           4
        .value_kind:     hidden_block_count_x
      - .offset:         20
        .size:           4
        .value_kind:     hidden_block_count_y
      - .offset:         24
        .size:           4
        .value_kind:     hidden_block_count_z
      - .offset:         28
        .size:           2
        .value_kind:     hidden_group_size_x
      - .offset:         30
        .size:           2
        .value_kind:     hidden_group_size_y
      - .offset:         32
        .size:           2
        .value_kind:     hidden_group_size_z
      - .offset:         34
        .size:           2
        .value_kind:     hidden_remainder_x
      - .offset:         36
        .size:           2
        .value_kind:     hidden_remainder_y
      - .offset:         38
        .size:           2
        .value_kind:     hidden_remainder_z
      - .offset:         56
        .size:           8
        .value_kind:     hidden_global_offset_x
      - .offset:         64
        .size:           8
        .value_kind:     hidden_global_offset_y
      - .offset:         72
        .size:           8
        .value_kind:     hidden_global_offset_z
      - .offset:         80
        .size:           2
        .value_kind:     hidden_grid_dims
    .group_segment_fixed_size: 4
    .kernarg_segment_align: 8
    .kernarg_segment_size: 272
    .language:       OpenCL C
    .language_version:
      - 2
      - 0
    .max_flat_workgroup_size: 1024
    .name:           _Z11fpc2_kernelPKmPj
    .private_segment_fixed_size: 0
    .sgpr_count:     14
    .sgpr_spill_count: 0
    .symbol:         _Z11fpc2_kernelPKmPj.kd
    .uniform_work_group_size: 1
    .uses_dynamic_stack: false
    .vgpr_count:     7
    .vgpr_spill_count: 0
    .wavefront_size: 32
    .workgroup_processor_mode: 1
amdhsa.target:   amdgcn-amd-amdhsa--gfx1030
amdhsa.version:
  - 1
  - 2
...

	.end_amdgpu_metadata
